;; amdgpu-corpus repo=ROCm/rocFFT kind=compiled arch=gfx1030 opt=O3
	.text
	.amdgcn_target "amdgcn-amd-amdhsa--gfx1030"
	.amdhsa_code_object_version 6
	.protected	fft_rtc_fwd_len1617_factors_3_7_7_11_wgs_231_tpt_231_dp_ip_CI_sbrr_dirReg ; -- Begin function fft_rtc_fwd_len1617_factors_3_7_7_11_wgs_231_tpt_231_dp_ip_CI_sbrr_dirReg
	.globl	fft_rtc_fwd_len1617_factors_3_7_7_11_wgs_231_tpt_231_dp_ip_CI_sbrr_dirReg
	.p2align	8
	.type	fft_rtc_fwd_len1617_factors_3_7_7_11_wgs_231_tpt_231_dp_ip_CI_sbrr_dirReg,@function
fft_rtc_fwd_len1617_factors_3_7_7_11_wgs_231_tpt_231_dp_ip_CI_sbrr_dirReg: ; @fft_rtc_fwd_len1617_factors_3_7_7_11_wgs_231_tpt_231_dp_ip_CI_sbrr_dirReg
; %bb.0:
	s_clause 0x2
	s_load_dwordx2 s[14:15], s[4:5], 0x18
	s_load_dwordx4 s[8:11], s[4:5], 0x0
	s_load_dwordx2 s[12:13], s[4:5], 0x50
	v_mul_u32_u24_e32 v1, 0x11c, v0
	v_mov_b32_e32 v3, 0
	v_add_nc_u32_sdwa v5, s6, v1 dst_sel:DWORD dst_unused:UNUSED_PAD src0_sel:DWORD src1_sel:WORD_1
	v_mov_b32_e32 v1, 0
	v_mov_b32_e32 v6, v3
	v_mov_b32_e32 v2, 0
	s_waitcnt lgkmcnt(0)
	s_load_dwordx2 s[2:3], s[14:15], 0x0
	v_cmp_lt_u64_e64 s0, s[10:11], 2
	s_and_b32 vcc_lo, exec_lo, s0
	s_cbranch_vccnz .LBB0_8
; %bb.1:
	s_load_dwordx2 s[0:1], s[4:5], 0x10
	v_mov_b32_e32 v1, 0
	s_add_u32 s6, s14, 8
	v_mov_b32_e32 v2, 0
	s_addc_u32 s7, s15, 0
	s_mov_b64 s[18:19], 1
	s_waitcnt lgkmcnt(0)
	s_add_u32 s16, s0, 8
	s_addc_u32 s17, s1, 0
.LBB0_2:                                ; =>This Inner Loop Header: Depth=1
	s_load_dwordx2 s[20:21], s[16:17], 0x0
                                        ; implicit-def: $vgpr7_vgpr8
	s_mov_b32 s0, exec_lo
	s_waitcnt lgkmcnt(0)
	v_or_b32_e32 v4, s21, v6
	v_cmpx_ne_u64_e32 0, v[3:4]
	s_xor_b32 s1, exec_lo, s0
	s_cbranch_execz .LBB0_4
; %bb.3:                                ;   in Loop: Header=BB0_2 Depth=1
	v_cvt_f32_u32_e32 v4, s20
	v_cvt_f32_u32_e32 v7, s21
	s_sub_u32 s0, 0, s20
	s_subb_u32 s22, 0, s21
	v_fmac_f32_e32 v4, 0x4f800000, v7
	v_rcp_f32_e32 v4, v4
	v_mul_f32_e32 v4, 0x5f7ffffc, v4
	v_mul_f32_e32 v7, 0x2f800000, v4
	v_trunc_f32_e32 v7, v7
	v_fmac_f32_e32 v4, 0xcf800000, v7
	v_cvt_u32_f32_e32 v7, v7
	v_cvt_u32_f32_e32 v4, v4
	v_mul_lo_u32 v8, s0, v7
	v_mul_hi_u32 v9, s0, v4
	v_mul_lo_u32 v10, s22, v4
	v_add_nc_u32_e32 v8, v9, v8
	v_mul_lo_u32 v9, s0, v4
	v_add_nc_u32_e32 v8, v8, v10
	v_mul_hi_u32 v10, v4, v9
	v_mul_lo_u32 v11, v4, v8
	v_mul_hi_u32 v12, v4, v8
	v_mul_hi_u32 v13, v7, v9
	v_mul_lo_u32 v9, v7, v9
	v_mul_hi_u32 v14, v7, v8
	v_mul_lo_u32 v8, v7, v8
	v_add_co_u32 v10, vcc_lo, v10, v11
	v_add_co_ci_u32_e32 v11, vcc_lo, 0, v12, vcc_lo
	v_add_co_u32 v9, vcc_lo, v10, v9
	v_add_co_ci_u32_e32 v9, vcc_lo, v11, v13, vcc_lo
	v_add_co_ci_u32_e32 v10, vcc_lo, 0, v14, vcc_lo
	v_add_co_u32 v8, vcc_lo, v9, v8
	v_add_co_ci_u32_e32 v9, vcc_lo, 0, v10, vcc_lo
	v_add_co_u32 v4, vcc_lo, v4, v8
	v_add_co_ci_u32_e32 v7, vcc_lo, v7, v9, vcc_lo
	v_mul_hi_u32 v8, s0, v4
	v_mul_lo_u32 v10, s22, v4
	v_mul_lo_u32 v9, s0, v7
	v_add_nc_u32_e32 v8, v8, v9
	v_mul_lo_u32 v9, s0, v4
	v_add_nc_u32_e32 v8, v8, v10
	v_mul_hi_u32 v10, v4, v9
	v_mul_lo_u32 v11, v4, v8
	v_mul_hi_u32 v12, v4, v8
	v_mul_hi_u32 v13, v7, v9
	v_mul_lo_u32 v9, v7, v9
	v_mul_hi_u32 v14, v7, v8
	v_mul_lo_u32 v8, v7, v8
	v_add_co_u32 v10, vcc_lo, v10, v11
	v_add_co_ci_u32_e32 v11, vcc_lo, 0, v12, vcc_lo
	v_add_co_u32 v9, vcc_lo, v10, v9
	v_add_co_ci_u32_e32 v9, vcc_lo, v11, v13, vcc_lo
	v_add_co_ci_u32_e32 v10, vcc_lo, 0, v14, vcc_lo
	v_add_co_u32 v8, vcc_lo, v9, v8
	v_add_co_ci_u32_e32 v9, vcc_lo, 0, v10, vcc_lo
	v_add_co_u32 v4, vcc_lo, v4, v8
	v_add_co_ci_u32_e32 v11, vcc_lo, v7, v9, vcc_lo
	v_mul_hi_u32 v13, v5, v4
	v_mad_u64_u32 v[9:10], null, v6, v4, 0
	v_mad_u64_u32 v[7:8], null, v5, v11, 0
	;; [unrolled: 1-line block ×3, first 2 shown]
	v_add_co_u32 v4, vcc_lo, v13, v7
	v_add_co_ci_u32_e32 v7, vcc_lo, 0, v8, vcc_lo
	v_add_co_u32 v4, vcc_lo, v4, v9
	v_add_co_ci_u32_e32 v4, vcc_lo, v7, v10, vcc_lo
	v_add_co_ci_u32_e32 v7, vcc_lo, 0, v12, vcc_lo
	v_add_co_u32 v4, vcc_lo, v4, v11
	v_add_co_ci_u32_e32 v9, vcc_lo, 0, v7, vcc_lo
	v_mul_lo_u32 v10, s21, v4
	v_mad_u64_u32 v[7:8], null, s20, v4, 0
	v_mul_lo_u32 v11, s20, v9
	v_sub_co_u32 v7, vcc_lo, v5, v7
	v_add3_u32 v8, v8, v11, v10
	v_sub_nc_u32_e32 v10, v6, v8
	v_subrev_co_ci_u32_e64 v10, s0, s21, v10, vcc_lo
	v_add_co_u32 v11, s0, v4, 2
	v_add_co_ci_u32_e64 v12, s0, 0, v9, s0
	v_sub_co_u32 v13, s0, v7, s20
	v_sub_co_ci_u32_e32 v8, vcc_lo, v6, v8, vcc_lo
	v_subrev_co_ci_u32_e64 v10, s0, 0, v10, s0
	v_cmp_le_u32_e32 vcc_lo, s20, v13
	v_cmp_eq_u32_e64 s0, s21, v8
	v_cndmask_b32_e64 v13, 0, -1, vcc_lo
	v_cmp_le_u32_e32 vcc_lo, s21, v10
	v_cndmask_b32_e64 v14, 0, -1, vcc_lo
	v_cmp_le_u32_e32 vcc_lo, s20, v7
	;; [unrolled: 2-line block ×3, first 2 shown]
	v_cndmask_b32_e64 v15, 0, -1, vcc_lo
	v_cmp_eq_u32_e32 vcc_lo, s21, v10
	v_cndmask_b32_e64 v7, v15, v7, s0
	v_cndmask_b32_e32 v10, v14, v13, vcc_lo
	v_add_co_u32 v13, vcc_lo, v4, 1
	v_add_co_ci_u32_e32 v14, vcc_lo, 0, v9, vcc_lo
	v_cmp_ne_u32_e32 vcc_lo, 0, v10
	v_cndmask_b32_e32 v8, v14, v12, vcc_lo
	v_cndmask_b32_e32 v10, v13, v11, vcc_lo
	v_cmp_ne_u32_e32 vcc_lo, 0, v7
	v_cndmask_b32_e32 v8, v9, v8, vcc_lo
	v_cndmask_b32_e32 v7, v4, v10, vcc_lo
.LBB0_4:                                ;   in Loop: Header=BB0_2 Depth=1
	s_andn2_saveexec_b32 s0, s1
	s_cbranch_execz .LBB0_6
; %bb.5:                                ;   in Loop: Header=BB0_2 Depth=1
	v_cvt_f32_u32_e32 v4, s20
	s_sub_i32 s1, 0, s20
	v_rcp_iflag_f32_e32 v4, v4
	v_mul_f32_e32 v4, 0x4f7ffffe, v4
	v_cvt_u32_f32_e32 v4, v4
	v_mul_lo_u32 v7, s1, v4
	v_mul_hi_u32 v7, v4, v7
	v_add_nc_u32_e32 v4, v4, v7
	v_mul_hi_u32 v4, v5, v4
	v_mul_lo_u32 v7, v4, s20
	v_add_nc_u32_e32 v8, 1, v4
	v_sub_nc_u32_e32 v7, v5, v7
	v_subrev_nc_u32_e32 v9, s20, v7
	v_cmp_le_u32_e32 vcc_lo, s20, v7
	v_cndmask_b32_e32 v7, v7, v9, vcc_lo
	v_cndmask_b32_e32 v4, v4, v8, vcc_lo
	v_cmp_le_u32_e32 vcc_lo, s20, v7
	v_add_nc_u32_e32 v8, 1, v4
	v_cndmask_b32_e32 v7, v4, v8, vcc_lo
	v_mov_b32_e32 v8, v3
.LBB0_6:                                ;   in Loop: Header=BB0_2 Depth=1
	s_or_b32 exec_lo, exec_lo, s0
	s_load_dwordx2 s[0:1], s[6:7], 0x0
	v_mul_lo_u32 v4, v8, s20
	v_mul_lo_u32 v11, v7, s21
	v_mad_u64_u32 v[9:10], null, v7, s20, 0
	s_add_u32 s18, s18, 1
	s_addc_u32 s19, s19, 0
	s_add_u32 s6, s6, 8
	s_addc_u32 s7, s7, 0
	;; [unrolled: 2-line block ×3, first 2 shown]
	v_add3_u32 v4, v10, v11, v4
	v_sub_co_u32 v5, vcc_lo, v5, v9
	v_sub_co_ci_u32_e32 v4, vcc_lo, v6, v4, vcc_lo
	s_waitcnt lgkmcnt(0)
	v_mul_lo_u32 v6, s1, v5
	v_mul_lo_u32 v4, s0, v4
	v_mad_u64_u32 v[1:2], null, s0, v5, v[1:2]
	v_cmp_ge_u64_e64 s0, s[18:19], s[10:11]
	s_and_b32 vcc_lo, exec_lo, s0
	v_add3_u32 v2, v6, v2, v4
	s_cbranch_vccnz .LBB0_9
; %bb.7:                                ;   in Loop: Header=BB0_2 Depth=1
	v_mov_b32_e32 v5, v7
	v_mov_b32_e32 v6, v8
	s_branch .LBB0_2
.LBB0_8:
	v_mov_b32_e32 v8, v6
	v_mov_b32_e32 v7, v5
.LBB0_9:
	s_lshl_b64 s[0:1], s[10:11], 3
	v_mul_hi_u32 v3, 0x11bb4a5, v0
	s_add_u32 s0, s14, s0
	s_addc_u32 s1, s15, s1
	s_load_dwordx2 s[0:1], s[0:1], 0x0
	s_load_dwordx2 s[4:5], s[4:5], 0x20
	v_mul_u32_u24_e32 v3, 0xe7, v3
	v_sub_nc_u32_e32 v86, v0, v3
	v_add_nc_u32_e32 v37, 0xe7, v86
	s_waitcnt lgkmcnt(0)
	v_mul_lo_u32 v4, s0, v8
	v_mul_lo_u32 v5, s1, v7
	v_mad_u64_u32 v[1:2], null, s0, v7, v[1:2]
	v_cmp_gt_u64_e32 vcc_lo, s[4:5], v[7:8]
	v_cmp_le_u64_e64 s0, s[4:5], v[7:8]
	v_add3_u32 v2, v5, v2, v4
	s_and_saveexec_b32 s1, s0
	s_xor_b32 s0, exec_lo, s1
; %bb.10:
	v_add_nc_u32_e32 v37, 0xe7, v86
; %bb.11:
	s_or_saveexec_b32 s1, s0
	v_lshlrev_b64 v[84:85], 4, v[1:2]
                                        ; implicit-def: $vgpr34_vgpr35
                                        ; implicit-def: $vgpr22_vgpr23
                                        ; implicit-def: $vgpr18_vgpr19
                                        ; implicit-def: $vgpr6_vgpr7
                                        ; implicit-def: $vgpr14_vgpr15
                                        ; implicit-def: $vgpr10_vgpr11
                                        ; implicit-def: $vgpr2_vgpr3
                                        ; implicit-def: $vgpr30_vgpr31
                                        ; implicit-def: $vgpr26_vgpr27
	s_xor_b32 exec_lo, exec_lo, s1
	s_cbranch_execz .LBB0_15
; %bb.12:
	v_add_nc_u32_e32 v9, 0x21b, v86
	v_mad_u64_u32 v[0:1], null, s2, v86, 0
	v_add_nc_u32_e32 v11, 0x436, v86
	v_add_nc_u32_e32 v14, 0x302, v86
	v_mad_u64_u32 v[2:3], null, s2, v9, 0
	v_add_nc_u32_e32 v15, 0x51d, v86
	v_mad_u64_u32 v[4:5], null, s2, v11, 0
	v_add_co_u32 v18, s0, s12, v84
	v_add_co_ci_u32_e64 v19, s0, s13, v85, s0
	v_mad_u64_u32 v[6:7], null, s3, v86, v[1:2]
	v_mov_b32_e32 v1, v3
	v_mad_u64_u32 v[7:8], null, s2, v37, 0
	v_mov_b32_e32 v3, v5
	s_mov_b32 s4, exec_lo
	v_mad_u64_u32 v[9:10], null, s3, v9, v[1:2]
	v_mov_b32_e32 v1, v6
	v_mad_u64_u32 v[5:6], null, s3, v11, v[3:4]
	v_mov_b32_e32 v6, v8
                                        ; implicit-def: $vgpr20_vgpr21
                                        ; implicit-def: $vgpr32_vgpr33
	v_lshlrev_b64 v[0:1], 4, v[0:1]
	v_mov_b32_e32 v3, v9
	v_mad_u64_u32 v[9:10], null, s2, v14, 0
	v_mad_u64_u32 v[11:12], null, s3, v37, v[6:7]
	;; [unrolled: 1-line block ×3, first 2 shown]
	v_lshlrev_b64 v[2:3], 4, v[2:3]
	v_add_co_u32 v0, s0, v18, v0
	v_mov_b32_e32 v6, v10
	v_mov_b32_e32 v8, v11
	v_lshlrev_b64 v[4:5], 4, v[4:5]
	v_add_co_ci_u32_e64 v1, s0, v19, v1, s0
	v_mad_u64_u32 v[10:11], null, s3, v14, v[6:7]
	v_mov_b32_e32 v6, v13
	v_add_co_u32 v2, s0, v18, v2
	v_add_co_ci_u32_e64 v3, s0, v19, v3, s0
	v_mad_u64_u32 v[13:14], null, s3, v15, v[6:7]
	v_lshlrev_b64 v[6:7], 4, v[7:8]
	v_add_co_u32 v4, s0, v18, v4
	v_lshlrev_b64 v[8:9], 4, v[9:10]
	v_add_co_ci_u32_e64 v5, s0, v19, v5, s0
	v_add_co_u32 v6, s0, v18, v6
	v_lshlrev_b64 v[10:11], 4, v[12:13]
	v_add_co_ci_u32_e64 v7, s0, v19, v7, s0
	v_add_co_u32 v12, s0, v18, v8
	v_add_co_ci_u32_e64 v13, s0, v19, v9, s0
	v_add_co_u32 v16, s0, v18, v10
	v_add_co_ci_u32_e64 v17, s0, v19, v11, s0
	s_clause 0x5
	global_load_dwordx4 v[24:27], v[0:1], off
	global_load_dwordx4 v[28:31], v[2:3], off
	;; [unrolled: 1-line block ×6, first 2 shown]
                                        ; implicit-def: $vgpr16_vgpr17
	v_cmpx_gt_u32_e32 0x4d, v86
	s_cbranch_execz .LBB0_14
; %bb.13:
	v_add_nc_u32_e32 v32, 0x1ce, v86
	v_add_nc_u32_e32 v34, 0x3e9, v86
	v_add_nc_u32_e32 v35, 0x604, v86
	v_mad_u64_u32 v[16:17], null, s2, v32, 0
	v_mad_u64_u32 v[20:21], null, s2, v34, 0
	;; [unrolled: 1-line block ×5, first 2 shown]
	s_waitcnt vmcnt(5)
	v_mad_u64_u32 v[34:35], null, s3, v35, v[23:24]
	v_mov_b32_e32 v17, v32
	v_mov_b32_e32 v21, v33
	v_lshlrev_b64 v[16:17], 4, v[16:17]
	v_mov_b32_e32 v23, v34
	v_lshlrev_b64 v[20:21], 4, v[20:21]
	v_lshlrev_b64 v[22:23], 4, v[22:23]
	v_add_co_u32 v16, s0, v18, v16
	v_add_co_ci_u32_e64 v17, s0, v19, v17, s0
	v_add_co_u32 v20, s0, v18, v20
	v_add_co_ci_u32_e64 v21, s0, v19, v21, s0
	;; [unrolled: 2-line block ×3, first 2 shown]
	s_clause 0x2
	global_load_dwordx4 v[16:19], v[16:17], off
	global_load_dwordx4 v[20:23], v[20:21], off
	;; [unrolled: 1-line block ×3, first 2 shown]
.LBB0_14:
	s_or_b32 exec_lo, exec_lo, s4
.LBB0_15:
	s_or_b32 exec_lo, exec_lo, s1
	s_waitcnt vmcnt(0)
	v_add_f64 v[46:47], v[32:33], v[20:21]
	v_add_f64 v[48:49], v[34:35], v[22:23]
	;; [unrolled: 1-line block ×7, first 2 shown]
	v_add_f64 v[52:53], v[30:31], -v[2:3]
	v_add_f64 v[30:31], v[30:31], v[26:27]
	v_add_f64 v[54:55], v[12:13], v[8:9]
	;; [unrolled: 1-line block ×3, first 2 shown]
	v_add_f64 v[66:67], v[22:23], -v[34:35]
	v_add_f64 v[70:71], v[20:21], -v[32:33]
	;; [unrolled: 1-line block ×5, first 2 shown]
	s_mov_b32 s0, 0xe8584caa
	s_mov_b32 s1, 0x3febb67a
	;; [unrolled: 1-line block ×4, first 2 shown]
	v_mad_u32_u24 v36, v86, 48, 0
	v_fma_f64 v[68:69], v[46:47], -0.5, v[16:17]
	v_fma_f64 v[72:73], v[48:49], -0.5, v[18:19]
	;; [unrolled: 1-line block ×6, first 2 shown]
	v_add_f64 v[9:10], v[0:1], v[50:51]
	v_mad_i32_i24 v8, v37, 48, 0
	v_add_f64 v[11:12], v[2:3], v[30:31]
	v_add_f64 v[24:25], v[4:5], v[54:55]
	;; [unrolled: 1-line block ×3, first 2 shown]
	v_fma_f64 v[0:1], v[66:67], s[0:1], v[68:69]
	v_fma_f64 v[4:5], v[66:67], s[4:5], v[68:69]
	v_fma_f64 v[2:3], v[70:71], s[4:5], v[72:73]
	v_fma_f64 v[6:7], v[70:71], s[0:1], v[72:73]
	v_fma_f64 v[28:29], v[52:53], s[0:1], v[38:39]
	v_fma_f64 v[30:31], v[58:59], s[4:5], v[40:41]
	v_fma_f64 v[38:39], v[52:53], s[4:5], v[38:39]
	v_fma_f64 v[40:41], v[58:59], s[0:1], v[40:41]
	v_fma_f64 v[42:43], v[14:15], s[0:1], v[60:61]
	v_fma_f64 v[44:45], v[62:63], s[4:5], v[64:65]
	v_fma_f64 v[46:47], v[14:15], s[4:5], v[60:61]
	v_fma_f64 v[48:49], v[62:63], s[0:1], v[64:65]
	s_mov_b32 s1, exec_lo
	ds_write_b128 v36, v[9:12]
	ds_write_b128 v36, v[28:31] offset:16
	ds_write_b128 v36, v[38:41] offset:32
	ds_write_b128 v8, v[24:27]
	ds_write_b128 v8, v[42:45] offset:16
	ds_write_b128 v8, v[46:49] offset:32
	v_cmpx_gt_u32_e32 0x4d, v86
	s_cbranch_execz .LBB0_17
; %bb.16:
	v_add_f64 v[9:10], v[22:23], v[18:19]
	v_add_f64 v[13:14], v[20:21], v[16:17]
	;; [unrolled: 1-line block ×4, first 2 shown]
	ds_write_b128 v36, v[0:3] offset:22192
	ds_write_b128 v36, v[9:12] offset:22176
	;; [unrolled: 1-line block ×3, first 2 shown]
.LBB0_17:
	s_or_b32 exec_lo, exec_lo, s1
	v_and_b32_e32 v35, 0xff, v86
	v_mov_b32_e32 v11, 6
	s_waitcnt lgkmcnt(0)
	s_barrier
	buffer_gl0_inv
	v_mul_lo_u16 v9, 0xab, v35
	s_mov_b32 s4, 0x37e14327
	s_mov_b32 s16, 0xe976ee23
	;; [unrolled: 1-line block ×4, first 2 shown]
	v_lshrrev_b16 v10, 9, v9
	s_mov_b32 s6, 0x429ad128
	s_mov_b32 s0, 0x36b3c0b5
	;; [unrolled: 1-line block ×4, first 2 shown]
	v_mul_lo_u16 v9, v10, 3
	s_mov_b32 s10, 0xaaaaaaaa
	s_mov_b32 s22, 0xb247c609
	;; [unrolled: 1-line block ×4, first 2 shown]
	v_sub_nc_u16 v12, v86, v9
	s_mov_b32 s23, 0x3fd5d0dc
	s_mov_b32 s15, 0x3fe77f67
	;; [unrolled: 1-line block ×4, first 2 shown]
	v_mul_u32_u24_sdwa v9, v12, v11 dst_sel:DWORD dst_unused:UNUSED_PAD src0_sel:BYTE_0 src1_sel:DWORD
	s_mov_b32 s18, s14
	s_mov_b32 s20, s22
	;; [unrolled: 1-line block ×4, first 2 shown]
	v_lshlrev_b32_e32 v9, 4, v9
	s_clause 0x5
	global_load_dwordx4 v[13:16], v9, s[8:9]
	global_load_dwordx4 v[17:20], v9, s[8:9] offset:16
	global_load_dwordx4 v[21:24], v9, s[8:9] offset:80
	;; [unrolled: 1-line block ×5, first 2 shown]
	v_lshlrev_b32_e32 v9, 5, v37
	v_lshlrev_b32_e32 v37, 5, v86
	v_sub_nc_u32_e32 v9, v8, v9
	v_sub_nc_u32_e32 v8, v36, v37
	ds_read_b128 v[42:45], v9
	ds_read_b128 v[46:49], v8 offset:7392
	ds_read_b128 v[50:53], v8 offset:22176
	;; [unrolled: 1-line block ×5, first 2 shown]
	ds_read_b128 v[66:69], v8
	s_waitcnt vmcnt(0) lgkmcnt(0)
	s_barrier
	buffer_gl0_inv
	v_mul_f64 v[33:34], v[44:45], v[15:16]
	v_mul_f64 v[15:16], v[42:43], v[15:16]
	;; [unrolled: 1-line block ×12, first 2 shown]
	v_fma_f64 v[33:34], v[42:43], v[13:14], -v[33:34]
	v_fma_f64 v[13:14], v[44:45], v[13:14], v[15:16]
	v_fma_f64 v[15:16], v[46:47], v[17:18], -v[70:71]
	v_fma_f64 v[17:18], v[48:49], v[17:18], v[19:20]
	;; [unrolled: 2-line block ×6, first 2 shown]
	v_mov_b32_e32 v75, 4
	v_lshlrev_b32_sdwa v12, v75, v12 dst_sel:DWORD dst_unused:UNUSED_PAD src0_sel:DWORD src1_sel:BYTE_0
	v_add_f64 v[40:41], v[33:34], v[19:20]
	v_add_f64 v[42:43], v[13:14], v[21:22]
	;; [unrolled: 1-line block ×4, first 2 shown]
	v_add_f64 v[15:16], v[15:16], -v[23:24]
	v_add_f64 v[17:18], v[17:18], -v[25:26]
	v_add_f64 v[23:24], v[27:28], v[31:32]
	v_add_f64 v[25:26], v[29:30], v[38:39]
	v_add_f64 v[27:28], v[31:32], -v[27:28]
	v_add_f64 v[29:30], v[38:39], -v[29:30]
	;; [unrolled: 1-line block ×4, first 2 shown]
	v_add_f64 v[13:14], v[44:45], v[40:41]
	v_add_f64 v[31:32], v[46:47], v[42:43]
	v_add_f64 v[33:34], v[40:41], -v[23:24]
	v_add_f64 v[38:39], v[42:43], -v[25:26]
	;; [unrolled: 1-line block ×6, first 2 shown]
	v_add_f64 v[58:59], v[27:28], v[15:16]
	v_add_f64 v[17:18], v[29:30], v[17:18]
	v_add_f64 v[27:28], v[19:20], -v[27:28]
	v_add_f64 v[29:30], v[21:22], -v[29:30]
	;; [unrolled: 1-line block ×4, first 2 shown]
	v_add_f64 v[56:57], v[23:24], v[13:14]
	v_add_f64 v[31:32], v[25:26], v[31:32]
	v_add_f64 v[23:24], v[23:24], -v[44:45]
	v_add_f64 v[25:26], v[25:26], -v[46:47]
	v_mul_lo_u16 v13, 0x87, v35
	v_mul_f64 v[33:34], v[33:34], s[4:5]
	v_mul_f64 v[38:39], v[38:39], s[4:5]
	;; [unrolled: 1-line block ×4, first 2 shown]
	v_lshrrev_b16 v35, 8, v13
	v_mul_f64 v[60:61], v[52:53], s[6:7]
	v_mul_f64 v[62:63], v[54:55], s[6:7]
	v_add_f64 v[19:20], v[58:59], v[19:20]
	v_add_f64 v[17:18], v[17:18], v[21:22]
	v_sub_nc_u16 v64, v86, v35
	v_add_f64 v[13:14], v[66:67], v[56:57]
	v_add_f64 v[15:16], v[68:69], v[31:32]
	v_mul_f64 v[44:45], v[23:24], s[0:1]
	v_mul_f64 v[46:47], v[25:26], s[0:1]
	v_fma_f64 v[21:22], v[23:24], s[0:1], v[33:34]
	v_fma_f64 v[23:24], v[25:26], s[0:1], v[38:39]
	v_fma_f64 v[25:26], v[27:28], s[22:23], v[48:49]
	v_fma_f64 v[58:59], v[29:30], s[22:23], v[50:51]
	v_fma_f64 v[48:49], v[52:53], s[6:7], -v[48:49]
	v_fma_f64 v[27:28], v[27:28], s[20:21], -v[60:61]
	;; [unrolled: 1-line block ×6, first 2 shown]
	v_fma_f64 v[52:53], v[56:57], s[10:11], v[13:14]
	v_fma_f64 v[31:32], v[31:32], s[10:11], v[15:16]
	v_fma_f64 v[40:41], v[40:41], s[14:15], -v[44:45]
	v_fma_f64 v[42:43], v[42:43], s[14:15], -v[46:47]
	v_lshrrev_b16 v44, 1, v64
	v_fma_f64 v[46:47], v[17:18], s[24:25], v[58:59]
	v_and_b32_e32 v64, 0x7f, v44
	v_fma_f64 v[44:45], v[19:20], s[24:25], v[25:26]
	v_fma_f64 v[54:55], v[19:20], s[24:25], v[27:28]
	;; [unrolled: 1-line block ×5, first 2 shown]
	v_add_nc_u16 v17, v64, v35
	v_mov_b32_e32 v35, 0x150
	v_lshrrev_b16 v17, 4, v17
	v_mul_u32_u24_sdwa v10, v10, v35 dst_sel:DWORD dst_unused:UNUSED_PAD src0_sel:WORD_0 src1_sel:DWORD
	v_add_f64 v[58:59], v[21:22], v[52:53]
	v_add_f64 v[60:61], v[23:24], v[31:32]
	;; [unrolled: 1-line block ×6, first 2 shown]
	v_and_b32_e32 v74, 15, v17
	v_add3_u32 v10, 0, v10, v12
	v_mul_lo_u16 v52, v74, 21
	v_sub_nc_u16 v76, v86, v52
	v_mul_u32_u24_sdwa v11, v76, v11 dst_sel:DWORD dst_unused:UNUSED_PAD src0_sel:BYTE_0 src1_sel:DWORD
	v_add_f64 v[17:18], v[46:47], v[58:59]
	v_add_f64 v[19:20], v[60:61], -v[44:45]
	v_add_f64 v[21:22], v[56:57], v[33:34]
	v_add_f64 v[23:24], v[62:63], -v[54:55]
	v_add_f64 v[25:26], v[29:30], -v[50:51]
	v_add_f64 v[27:28], v[48:49], v[31:32]
	v_add_f64 v[29:30], v[50:51], v[29:30]
	v_add_f64 v[31:32], v[31:32], -v[48:49]
	v_add_f64 v[38:39], v[33:34], -v[56:57]
	v_add_f64 v[40:41], v[54:55], v[62:63]
	v_add_f64 v[42:43], v[58:59], -v[46:47]
	v_add_f64 v[44:45], v[44:45], v[60:61]
	v_lshlrev_b32_e32 v33, 4, v11
	ds_write_b128 v10, v[13:16]
	ds_write_b128 v10, v[17:20] offset:48
	ds_write_b128 v10, v[21:24] offset:96
	;; [unrolled: 1-line block ×6, first 2 shown]
	s_waitcnt lgkmcnt(0)
	s_barrier
	buffer_gl0_inv
	s_clause 0x5
	global_load_dwordx4 v[10:13], v33, s[8:9] offset:288
	global_load_dwordx4 v[14:17], v33, s[8:9] offset:304
	;; [unrolled: 1-line block ×6, first 2 shown]
	ds_read_b128 v[38:41], v9
	ds_read_b128 v[42:45], v8 offset:7392
	ds_read_b128 v[46:49], v8 offset:22176
	;; [unrolled: 1-line block ×5, first 2 shown]
	ds_read_b128 v[62:65], v8
	s_waitcnt vmcnt(0) lgkmcnt(0)
	s_barrier
	buffer_gl0_inv
	v_mul_f64 v[8:9], v[40:41], v[12:13]
	v_mul_f64 v[12:13], v[38:39], v[12:13]
	;; [unrolled: 1-line block ×12, first 2 shown]
	v_fma_f64 v[8:9], v[38:39], v[10:11], -v[8:9]
	v_fma_f64 v[10:11], v[40:41], v[10:11], v[12:13]
	v_fma_f64 v[12:13], v[42:43], v[14:15], -v[34:35]
	v_fma_f64 v[14:15], v[44:45], v[14:15], v[16:17]
	;; [unrolled: 2-line block ×6, first 2 shown]
	v_add_f64 v[32:33], v[8:9], v[16:17]
	v_add_f64 v[34:35], v[10:11], v[18:19]
	;; [unrolled: 1-line block ×4, first 2 shown]
	v_add_f64 v[12:13], v[12:13], -v[20:21]
	v_add_f64 v[14:15], v[14:15], -v[22:23]
	v_add_f64 v[20:21], v[24:25], v[28:29]
	v_add_f64 v[22:23], v[26:27], v[30:31]
	v_add_f64 v[24:25], v[28:29], -v[24:25]
	v_add_f64 v[26:27], v[30:31], -v[26:27]
	v_add_f64 v[16:17], v[8:9], -v[16:17]
	v_add_f64 v[18:19], v[10:11], -v[18:19]
	v_add_f64 v[8:9], v[38:39], v[32:33]
	v_add_f64 v[10:11], v[40:41], v[34:35]
	v_add_f64 v[28:29], v[32:33], -v[20:21]
	v_add_f64 v[30:31], v[34:35], -v[22:23]
	;; [unrolled: 1-line block ×6, first 2 shown]
	v_add_f64 v[12:13], v[24:25], v[12:13]
	v_add_f64 v[14:15], v[26:27], v[14:15]
	v_add_f64 v[24:25], v[16:17], -v[24:25]
	v_add_f64 v[26:27], v[18:19], -v[26:27]
	;; [unrolled: 1-line block ×4, first 2 shown]
	v_add_f64 v[50:51], v[20:21], v[8:9]
	v_add_f64 v[52:53], v[22:23], v[10:11]
	v_add_f64 v[20:21], v[20:21], -v[38:39]
	v_add_f64 v[22:23], v[22:23], -v[40:41]
	v_mul_f64 v[28:29], v[28:29], s[4:5]
	v_mul_f64 v[30:31], v[30:31], s[4:5]
	;; [unrolled: 1-line block ×6, first 2 shown]
	v_add_f64 v[12:13], v[12:13], v[16:17]
	v_add_f64 v[14:15], v[14:15], v[18:19]
	;; [unrolled: 1-line block ×4, first 2 shown]
	v_mul_f64 v[38:39], v[20:21], s[0:1]
	v_mul_f64 v[40:41], v[22:23], s[0:1]
	v_fma_f64 v[16:17], v[20:21], s[0:1], v[28:29]
	v_fma_f64 v[18:19], v[22:23], s[0:1], v[30:31]
	;; [unrolled: 1-line block ×4, first 2 shown]
	v_fma_f64 v[42:43], v[46:47], s[6:7], -v[42:43]
	v_fma_f64 v[44:45], v[48:49], s[6:7], -v[44:45]
	;; [unrolled: 1-line block ×6, first 2 shown]
	v_cmp_gt_u32_e64 s0, 0x93, v86
	v_fma_f64 v[46:47], v[50:51], s[10:11], v[8:9]
	v_fma_f64 v[48:49], v[52:53], s[10:11], v[10:11]
	v_fma_f64 v[32:33], v[32:33], s[14:15], -v[38:39]
	v_fma_f64 v[34:35], v[34:35], s[14:15], -v[40:41]
	v_fma_f64 v[38:39], v[12:13], s[24:25], v[20:21]
	v_fma_f64 v[40:41], v[14:15], s[24:25], v[22:23]
	;; [unrolled: 1-line block ×6, first 2 shown]
	v_add_f64 v[54:55], v[16:17], v[46:47]
	v_add_f64 v[56:57], v[18:19], v[48:49]
	;; [unrolled: 1-line block ×7, first 2 shown]
	v_add_f64 v[14:15], v[56:57], -v[38:39]
	v_add_f64 v[16:17], v[52:53], v[28:29]
	v_add_f64 v[18:19], v[30:31], -v[50:51]
	v_add_f64 v[20:21], v[24:25], -v[44:45]
	v_add_f64 v[22:23], v[42:43], v[26:27]
	v_add_f64 v[24:25], v[44:45], v[24:25]
	v_add_f64 v[26:27], v[26:27], -v[42:43]
	v_add_f64 v[28:29], v[28:29], -v[52:53]
	v_add_f64 v[30:31], v[50:51], v[30:31]
	v_add_f64 v[32:33], v[54:55], -v[40:41]
	v_add_f64 v[34:35], v[38:39], v[56:57]
	v_mov_b32_e32 v38, 0x930
	v_lshlrev_b32_sdwa v39, v75, v76 dst_sel:DWORD dst_unused:UNUSED_PAD src0_sel:DWORD src1_sel:BYTE_0
                                        ; implicit-def: $vgpr42_vgpr43
	v_mul_u32_u24_sdwa v38, v74, v38 dst_sel:DWORD dst_unused:UNUSED_PAD src0_sel:WORD_0 src1_sel:DWORD
	v_add3_u32 v38, 0, v38, v39
	ds_write_b128 v38, v[8:11]
	ds_write_b128 v38, v[12:15] offset:336
	ds_write_b128 v38, v[16:19] offset:672
	;; [unrolled: 1-line block ×6, first 2 shown]
	s_waitcnt lgkmcnt(0)
	s_barrier
	buffer_gl0_inv
                                        ; implicit-def: $vgpr38_vgpr39
	s_and_saveexec_b32 s1, s0
	s_cbranch_execnz .LBB0_20
; %bb.18:
	s_or_b32 exec_lo, exec_lo, s1
	s_and_b32 s0, vcc_lo, s0
	s_and_saveexec_b32 s1, s0
	s_cbranch_execnz .LBB0_21
.LBB0_19:
	s_endpgm
.LBB0_20:
	v_sub_nc_u32_e32 v0, 0, v37
	v_add_nc_u32_e32 v40, v36, v0
	ds_read_b128 v[8:11], v40
	ds_read_b128 v[12:15], v40 offset:2352
	ds_read_b128 v[16:19], v40 offset:4704
	;; [unrolled: 1-line block ×10, first 2 shown]
	s_or_b32 exec_lo, exec_lo, s1
	s_and_b32 s0, vcc_lo, s0
	s_and_saveexec_b32 s1, s0
	s_cbranch_execz .LBB0_19
.LBB0_21:
	v_mul_u32_u24_e32 v44, 10, v86
	v_mad_u64_u32 v[88:89], null, s2, v86, 0
	v_add_nc_u32_e32 v110, 0x93, v86
	v_add_nc_u32_e32 v111, 0x126, v86
	v_lshlrev_b32_e32 v44, 4, v44
	v_add_nc_u32_e32 v112, 0x1b9, v86
	v_add_nc_u32_e32 v113, 0x24c, v86
	;; [unrolled: 1-line block ×4, first 2 shown]
	v_add_co_u32 v46, s0, s8, v44
	v_add_co_ci_u32_e64 v47, null, s9, 0, s0
	v_add_nc_u32_e32 v117, 0x498, v86
	v_add_co_u32 v60, vcc_lo, 0x800, v46
	v_add_co_ci_u32_e32 v61, vcc_lo, 0, v47, vcc_lo
	v_add_co_u32 v62, vcc_lo, 0x940, v46
	v_add_co_ci_u32_e32 v63, vcc_lo, 0, v47, vcc_lo
	v_add_co_u32 v44, vcc_lo, 0x980, v46
	s_clause 0x1
	global_load_dwordx4 v[48:51], v[60:61], off offset:320
	global_load_dwordx4 v[52:55], v[60:61], off offset:256
	v_add_co_ci_u32_e32 v45, vcc_lo, 0, v47, vcc_lo
	v_add_co_u32 v64, vcc_lo, 0x900, v46
	v_add_co_ci_u32_e32 v65, vcc_lo, 0, v47, vcc_lo
	s_clause 0x7
	global_load_dwordx4 v[56:59], v[44:45], off offset:16
	global_load_dwordx4 v[44:47], v[62:63], off offset:16
	;; [unrolled: 1-line block ×8, first 2 shown]
	v_add_nc_u32_e32 v119, 0x5be, v86
	v_add_co_u32 v87, vcc_lo, s12, v84
	v_mad_u64_u32 v[90:91], null, s2, v110, 0
	v_mad_u64_u32 v[92:93], null, s2, v111, 0
	v_add_co_ci_u32_e32 v84, vcc_lo, s13, v85, vcc_lo
	v_mad_u64_u32 v[94:95], null, s2, v112, 0
	v_mov_b32_e32 v85, v89
	v_mad_u64_u32 v[96:97], null, s2, v113, 0
	v_mad_u64_u32 v[98:99], null, s2, v114, 0
	;; [unrolled: 1-line block ×5, first 2 shown]
	v_add_nc_u32_e32 v116, 0x405, v86
	v_add_nc_u32_e32 v118, 0x52b, v86
	v_mad_u64_u32 v[85:86], null, s3, v86, v[85:86]
	v_mov_b32_e32 v86, v91
	v_mov_b32_e32 v89, v93
	;; [unrolled: 1-line block ×4, first 2 shown]
	v_mad_u64_u32 v[102:103], null, s2, v116, 0
	v_mov_b32_e32 v95, v99
	v_mov_b32_e32 v97, v101
	;; [unrolled: 1-line block ×4, first 2 shown]
	v_mad_u64_u32 v[109:110], null, s3, v110, v[86:87]
	v_mad_u64_u32 v[110:111], null, s3, v111, v[89:90]
	;; [unrolled: 1-line block ×5, first 2 shown]
	v_mov_b32_e32 v99, v103
	v_mad_u64_u32 v[114:115], null, s3, v115, v[97:98]
	v_mad_u64_u32 v[106:107], null, s2, v118, 0
	;; [unrolled: 1-line block ×3, first 2 shown]
	v_mov_b32_e32 v93, v110
	v_mov_b32_e32 v95, v111
	;; [unrolled: 1-line block ×5, first 2 shown]
	v_mad_u64_u32 v[116:117], null, s3, v117, v[101:102]
	v_mov_b32_e32 v89, v85
	v_mov_b32_e32 v91, v109
	v_mad_u64_u32 v[117:118], null, s3, v118, v[103:104]
	v_mad_u64_u32 v[118:119], null, s3, v119, v[105:106]
	v_mov_b32_e32 v101, v114
	v_mov_b32_e32 v103, v115
	;; [unrolled: 1-line block ×3, first 2 shown]
	v_lshlrev_b64 v[85:86], 4, v[88:89]
	v_mov_b32_e32 v107, v117
	v_lshlrev_b64 v[88:89], 4, v[90:91]
	v_mov_b32_e32 v109, v118
	v_lshlrev_b64 v[90:91], 4, v[92:93]
	v_lshlrev_b64 v[92:93], 4, v[94:95]
	;; [unrolled: 1-line block ×6, first 2 shown]
	s_mov_b32 s0, 0x640f44db
	s_mov_b32 s16, 0xd9c712b6
	;; [unrolled: 1-line block ×26, first 2 shown]
	v_add_co_u32 v85, vcc_lo, v87, v85
	v_add_co_ci_u32_e32 v86, vcc_lo, v84, v86, vcc_lo
	v_add_co_u32 v88, vcc_lo, v87, v88
	v_add_co_ci_u32_e32 v89, vcc_lo, v84, v89, vcc_lo
	;; [unrolled: 2-line block ×6, first 2 shown]
	v_add_co_u32 v98, vcc_lo, v87, v98
	s_mov_b32 s35, 0x3fed1bb4
	s_mov_b32 s27, 0x3fe14ced
	;; [unrolled: 1-line block ×4, first 2 shown]
	v_add_co_ci_u32_e32 v99, vcc_lo, v84, v99, vcc_lo
	s_waitcnt vmcnt(9) lgkmcnt(5)
	v_mul_f64 v[102:103], v[30:31], v[48:49]
	s_waitcnt vmcnt(8)
	v_mul_f64 v[110:111], v[14:15], v[52:53]
	v_mul_f64 v[14:15], v[14:15], v[54:55]
	s_waitcnt vmcnt(7) lgkmcnt(0)
	v_mul_f64 v[112:113], v[42:43], v[56:57]
	v_mul_f64 v[42:43], v[42:43], v[58:59]
	;; [unrolled: 1-line block ×3, first 2 shown]
	s_waitcnt vmcnt(5)
	v_mul_f64 v[116:117], v[18:19], v[80:81]
	v_mul_f64 v[18:19], v[18:19], v[82:83]
	s_waitcnt vmcnt(4)
	v_mul_f64 v[118:119], v[38:39], v[76:77]
	s_waitcnt vmcnt(1)
	v_mul_f64 v[124:125], v[26:27], v[64:65]
	v_mul_f64 v[26:27], v[26:27], v[66:67]
	;; [unrolled: 1-line block ×9, first 2 shown]
	s_waitcnt vmcnt(0)
	v_mul_f64 v[126:127], v[2:3], v[60:61]
	v_mul_f64 v[2:3], v[2:3], v[62:63]
	v_fma_f64 v[54:55], v[12:13], v[54:55], v[110:111]
	v_fma_f64 v[12:13], v[12:13], v[52:53], -v[14:15]
	v_fma_f64 v[52:53], v[40:41], v[58:59], v[112:113]
	v_fma_f64 v[40:41], v[40:41], v[56:57], -v[42:43]
	;; [unrolled: 2-line block ×4, first 2 shown]
	v_fma_f64 v[18:19], v[36:37], v[78:79], v[118:119]
	v_fma_f64 v[42:43], v[24:25], v[66:67], v[124:125]
	v_fma_f64 v[24:25], v[24:25], v[64:65], -v[26:27]
	v_fma_f64 v[36:37], v[36:37], v[76:77], -v[38:39]
	v_fma_f64 v[38:39], v[20:21], v[74:75], v[120:121]
	v_fma_f64 v[20:21], v[20:21], v[72:73], -v[22:23]
	v_fma_f64 v[22:23], v[4:5], v[70:71], v[122:123]
	v_fma_f64 v[4:5], v[4:5], v[68:69], -v[6:7]
	v_fma_f64 v[6:7], v[32:33], v[46:47], v[114:115]
	v_fma_f64 v[46:47], v[0:1], v[62:63], v[126:127]
	v_fma_f64 v[32:33], v[32:33], v[44:45], -v[34:35]
	v_fma_f64 v[0:1], v[0:1], v[60:61], -v[2:3]
	v_add_co_u32 v44, vcc_lo, v87, v100
	v_add_f64 v[50:51], v[10:11], v[54:55]
	v_add_f64 v[2:3], v[54:55], v[52:53]
	v_add_f64 v[26:27], v[12:13], -v[40:41]
	v_add_f64 v[48:49], v[12:13], v[40:41]
	v_add_f64 v[12:13], v[8:9], v[12:13]
	v_add_f64 v[34:35], v[54:55], -v[52:53]
	v_add_co_ci_u32_e32 v45, vcc_lo, v84, v101, vcc_lo
	v_add_f64 v[54:55], v[30:31], v[18:19]
	v_add_f64 v[58:59], v[30:31], -v[18:19]
	v_add_f64 v[56:57], v[16:17], -v[36:37]
	v_add_f64 v[60:61], v[16:17], v[36:37]
	v_add_f64 v[62:63], v[38:39], v[22:23]
	v_add_f64 v[66:67], v[38:39], -v[22:23]
	v_add_f64 v[74:75], v[14:15], v[6:7]
	v_add_f64 v[70:71], v[42:43], v[46:47]
	v_add_f64 v[72:73], v[42:43], -v[46:47]
	v_add_f64 v[76:77], v[14:15], -v[6:7]
	v_add_f64 v[82:83], v[28:29], -v[32:33]
	v_add_f64 v[64:65], v[20:21], -v[4:5]
	v_add_f64 v[30:31], v[30:31], v[50:51]
	v_mul_f64 v[102:103], v[2:3], s[8:9]
	v_mul_f64 v[110:111], v[2:3], s[10:11]
	;; [unrolled: 1-line block ×3, first 2 shown]
	v_add_f64 v[12:13], v[16:17], v[12:13]
	v_mul_f64 v[114:115], v[2:3], s[16:17]
	v_mul_f64 v[2:3], v[2:3], s[6:7]
	;; [unrolled: 1-line block ×17, first 2 shown]
	v_add_f64 v[30:31], v[38:39], v[30:31]
	v_fma_f64 v[16:17], v[26:27], s[22:23], v[102:103]
	v_fma_f64 v[50:51], v[26:27], s[30:31], v[102:103]
	;; [unrolled: 1-line block ×3, first 2 shown]
	v_add_f64 v[12:13], v[20:21], v[12:13]
	v_fma_f64 v[110:111], v[26:27], s[28:29], v[110:111]
	v_fma_f64 v[188:189], v[26:27], s[4:5], v[112:113]
	;; [unrolled: 1-line block ×8, first 2 shown]
	v_mul_f64 v[58:59], v[58:59], s[20:21]
	v_fma_f64 v[200:201], v[48:49], s[6:7], v[34:35]
	v_fma_f64 v[34:35], v[48:49], s[6:7], -v[34:35]
	v_add_f64 v[68:69], v[20:21], v[4:5]
	v_add_f64 v[78:79], v[24:25], -v[0:1]
	v_add_f64 v[80:81], v[24:25], v[0:1]
	v_add_f64 v[100:101], v[28:29], v[32:33]
	v_mul_f64 v[128:129], v[62:63], s[10:11]
	v_mul_f64 v[130:131], v[66:67], s[28:29]
	v_add_f64 v[30:31], v[42:43], v[30:31]
	v_mul_f64 v[132:133], v[70:71], s[16:17]
	v_mul_f64 v[134:135], v[72:73], s[34:35]
	;; [unrolled: 1-line block ×3, first 2 shown]
	v_add_f64 v[12:13], v[24:25], v[12:13]
	v_mul_f64 v[138:139], v[76:77], s[24:25]
	v_mul_f64 v[144:145], v[62:63], s[6:7]
	;; [unrolled: 1-line block ×17, first 2 shown]
	v_add_f64 v[14:15], v[14:15], v[30:31]
	v_mul_f64 v[186:187], v[76:77], s[26:27]
	v_mul_f64 v[62:63], v[62:63], s[0:1]
	v_mul_f64 v[66:67], v[66:67], s[24:25]
	v_add_f64 v[12:13], v[28:29], v[12:13]
	v_mul_f64 v[70:71], v[70:71], s[10:11]
	v_mul_f64 v[72:73], v[72:73], s[28:29]
	;; [unrolled: 1-line block ×4, first 2 shown]
	v_fma_f64 v[116:117], v[48:49], s[8:9], -v[116:117]
	v_fma_f64 v[194:195], v[48:49], s[10:11], v[118:119]
	v_fma_f64 v[118:119], v[48:49], s[10:11], -v[118:119]
	v_fma_f64 v[198:199], v[48:49], s[16:17], v[122:123]
	;; [unrolled: 2-line block ×4, first 2 shown]
	v_fma_f64 v[216:217], v[56:57], s[24:25], v[140:141]
	v_fma_f64 v[228:229], v[82:83], s[20:21], v[152:153]
	;; [unrolled: 1-line block ×8, first 2 shown]
	v_add_f64 v[26:27], v[8:9], v[26:27]
	v_add_f64 v[102:103], v[10:11], v[102:103]
	v_add_f64 v[110:111], v[10:11], v[110:111]
	v_add_f64 v[112:113], v[10:11], v[112:113]
	v_add_f64 v[114:115], v[10:11], v[114:115]
	v_add_f64 v[2:3], v[10:11], v[2:3]
	v_add_f64 v[6:7], v[6:7], v[14:15]
	v_add_f64 v[12:13], v[32:33], v[12:13]
	v_fma_f64 v[48:49], v[56:57], s[14:15], v[124:125]
	v_fma_f64 v[124:125], v[56:57], s[26:27], v[124:125]
	;; [unrolled: 1-line block ×4, first 2 shown]
	v_fma_f64 v[56:57], v[60:61], s[16:17], -v[58:59]
	v_add_f64 v[14:15], v[8:9], v[34:35]
	v_fma_f64 v[204:205], v[64:65], s[18:19], v[128:129]
	v_fma_f64 v[206:207], v[68:69], s[10:11], v[130:131]
	;; [unrolled: 1-line block ×6, first 2 shown]
	v_fma_f64 v[126:127], v[60:61], s[6:7], -v[126:127]
	v_fma_f64 v[128:129], v[64:65], s[28:29], v[128:129]
	v_fma_f64 v[130:131], v[68:69], s[10:11], -v[130:131]
	v_fma_f64 v[132:133], v[78:79], s[34:35], v[132:133]
	;; [unrolled: 2-line block ×4, first 2 shown]
	v_fma_f64 v[220:221], v[64:65], s[26:27], v[144:145]
	v_fma_f64 v[222:223], v[68:69], s[6:7], v[146:147]
	;; [unrolled: 1-line block ×5, first 2 shown]
	v_fma_f64 v[142:143], v[60:61], s[0:1], -v[142:143]
	v_fma_f64 v[144:145], v[64:65], s[14:15], v[144:145]
	v_fma_f64 v[146:147], v[68:69], s[6:7], -v[146:147]
	v_fma_f64 v[148:149], v[78:79], s[30:31], v[148:149]
	v_fma_f64 v[150:151], v[80:81], s[8:9], -v[150:151]
	v_fma_f64 v[20:21], v[100:101], s[16:17], -v[154:155]
	v_fma_f64 v[154:155], v[60:61], s[8:9], v[158:159]
	v_fma_f64 v[232:233], v[64:65], s[20:21], v[160:161]
	;; [unrolled: 1-line block ×6, first 2 shown]
	v_fma_f64 v[158:159], v[60:61], s[8:9], -v[158:159]
	v_fma_f64 v[160:161], v[64:65], s[34:35], v[160:161]
	v_fma_f64 v[162:163], v[68:69], s[16:17], -v[162:163]
	v_fma_f64 v[164:165], v[78:79], s[14:15], v[164:165]
	v_fma_f64 v[166:167], v[80:81], s[6:7], -v[166:167]
	v_fma_f64 v[244:245], v[60:61], s[10:11], -v[174:175]
	v_fma_f64 v[246:247], v[64:65], s[22:23], v[176:177]
	v_fma_f64 v[248:249], v[68:69], s[8:9], -v[178:179]
	v_fma_f64 v[250:251], v[78:79], s[4:5], v[180:181]
	;; [unrolled: 2-line block ×3, first 2 shown]
	v_fma_f64 v[58:59], v[60:61], s[16:17], v[58:59]
	v_fma_f64 v[60:61], v[64:65], s[24:25], v[62:63]
	;; [unrolled: 1-line block ×4, first 2 shown]
	v_fma_f64 v[64:65], v[68:69], s[0:1], -v[66:67]
	v_fma_f64 v[178:179], v[68:69], s[8:9], v[178:179]
	v_fma_f64 v[66:67], v[68:69], s[0:1], v[66:67]
	;; [unrolled: 1-line block ×5, first 2 shown]
	v_fma_f64 v[78:79], v[80:81], s[10:11], -v[72:73]
	v_fma_f64 v[182:183], v[80:81], s[0:1], v[182:183]
	v_fma_f64 v[72:73], v[80:81], s[10:11], v[72:73]
	;; [unrolled: 1-line block ×4, first 2 shown]
	v_fma_f64 v[170:171], v[100:101], s[10:11], -v[170:171]
	v_fma_f64 v[30:31], v[82:83], s[26:27], v[184:185]
	v_fma_f64 v[28:29], v[82:83], s[30:31], v[74:75]
	;; [unrolled: 1-line block ×4, first 2 shown]
	v_fma_f64 v[82:83], v[100:101], s[6:7], -v[186:187]
	v_fma_f64 v[186:187], v[100:101], s[6:7], v[186:187]
	v_fma_f64 v[252:253], v[100:101], s[8:9], -v[76:77]
	v_fma_f64 v[76:77], v[100:101], s[8:9], v[76:77]
	v_lshlrev_b64 v[100:101], 4, v[104:105]
	v_lshlrev_b64 v[104:105], 4, v[106:107]
	;; [unrolled: 1-line block ×3, first 2 shown]
	v_add_f64 v[16:17], v[10:11], v[16:17]
	v_add_f64 v[50:51], v[10:11], v[50:51]
	;; [unrolled: 1-line block ×101, first 2 shown]
	v_add_co_u32 v46, vcc_lo, v87, v100
	v_add_co_ci_u32_e32 v47, vcc_lo, v84, v101, vcc_lo
	v_add_co_u32 v48, vcc_lo, v87, v104
	v_add_co_ci_u32_e32 v49, vcc_lo, v84, v105, vcc_lo
	;; [unrolled: 2-line block ×3, first 2 shown]
	global_store_dwordx4 v[85:86], v[28:31], off
	global_store_dwordx4 v[88:89], v[24:27], off
	;; [unrolled: 1-line block ×11, first 2 shown]
	s_endpgm
	.section	.rodata,"a",@progbits
	.p2align	6, 0x0
	.amdhsa_kernel fft_rtc_fwd_len1617_factors_3_7_7_11_wgs_231_tpt_231_dp_ip_CI_sbrr_dirReg
		.amdhsa_group_segment_fixed_size 0
		.amdhsa_private_segment_fixed_size 0
		.amdhsa_kernarg_size 88
		.amdhsa_user_sgpr_count 6
		.amdhsa_user_sgpr_private_segment_buffer 1
		.amdhsa_user_sgpr_dispatch_ptr 0
		.amdhsa_user_sgpr_queue_ptr 0
		.amdhsa_user_sgpr_kernarg_segment_ptr 1
		.amdhsa_user_sgpr_dispatch_id 0
		.amdhsa_user_sgpr_flat_scratch_init 0
		.amdhsa_user_sgpr_private_segment_size 0
		.amdhsa_wavefront_size32 1
		.amdhsa_uses_dynamic_stack 0
		.amdhsa_system_sgpr_private_segment_wavefront_offset 0
		.amdhsa_system_sgpr_workgroup_id_x 1
		.amdhsa_system_sgpr_workgroup_id_y 0
		.amdhsa_system_sgpr_workgroup_id_z 0
		.amdhsa_system_sgpr_workgroup_info 0
		.amdhsa_system_vgpr_workitem_id 0
		.amdhsa_next_free_vgpr 254
		.amdhsa_next_free_sgpr 36
		.amdhsa_reserve_vcc 1
		.amdhsa_reserve_flat_scratch 0
		.amdhsa_float_round_mode_32 0
		.amdhsa_float_round_mode_16_64 0
		.amdhsa_float_denorm_mode_32 3
		.amdhsa_float_denorm_mode_16_64 3
		.amdhsa_dx10_clamp 1
		.amdhsa_ieee_mode 1
		.amdhsa_fp16_overflow 0
		.amdhsa_workgroup_processor_mode 1
		.amdhsa_memory_ordered 1
		.amdhsa_forward_progress 0
		.amdhsa_shared_vgpr_count 0
		.amdhsa_exception_fp_ieee_invalid_op 0
		.amdhsa_exception_fp_denorm_src 0
		.amdhsa_exception_fp_ieee_div_zero 0
		.amdhsa_exception_fp_ieee_overflow 0
		.amdhsa_exception_fp_ieee_underflow 0
		.amdhsa_exception_fp_ieee_inexact 0
		.amdhsa_exception_int_div_zero 0
	.end_amdhsa_kernel
	.text
.Lfunc_end0:
	.size	fft_rtc_fwd_len1617_factors_3_7_7_11_wgs_231_tpt_231_dp_ip_CI_sbrr_dirReg, .Lfunc_end0-fft_rtc_fwd_len1617_factors_3_7_7_11_wgs_231_tpt_231_dp_ip_CI_sbrr_dirReg
                                        ; -- End function
	.section	.AMDGPU.csdata,"",@progbits
; Kernel info:
; codeLenInByte = 8596
; NumSgprs: 38
; NumVgprs: 254
; ScratchSize: 0
; MemoryBound: 1
; FloatMode: 240
; IeeeMode: 1
; LDSByteSize: 0 bytes/workgroup (compile time only)
; SGPRBlocks: 4
; VGPRBlocks: 31
; NumSGPRsForWavesPerEU: 38
; NumVGPRsForWavesPerEU: 254
; Occupancy: 4
; WaveLimiterHint : 1
; COMPUTE_PGM_RSRC2:SCRATCH_EN: 0
; COMPUTE_PGM_RSRC2:USER_SGPR: 6
; COMPUTE_PGM_RSRC2:TRAP_HANDLER: 0
; COMPUTE_PGM_RSRC2:TGID_X_EN: 1
; COMPUTE_PGM_RSRC2:TGID_Y_EN: 0
; COMPUTE_PGM_RSRC2:TGID_Z_EN: 0
; COMPUTE_PGM_RSRC2:TIDIG_COMP_CNT: 0
	.text
	.p2alignl 6, 3214868480
	.fill 48, 4, 3214868480
	.type	__hip_cuid_5f6bd7b7b041949e,@object ; @__hip_cuid_5f6bd7b7b041949e
	.section	.bss,"aw",@nobits
	.globl	__hip_cuid_5f6bd7b7b041949e
__hip_cuid_5f6bd7b7b041949e:
	.byte	0                               ; 0x0
	.size	__hip_cuid_5f6bd7b7b041949e, 1

	.ident	"AMD clang version 19.0.0git (https://github.com/RadeonOpenCompute/llvm-project roc-6.4.0 25133 c7fe45cf4b819c5991fe208aaa96edf142730f1d)"
	.section	".note.GNU-stack","",@progbits
	.addrsig
	.addrsig_sym __hip_cuid_5f6bd7b7b041949e
	.amdgpu_metadata
---
amdhsa.kernels:
  - .args:
      - .actual_access:  read_only
        .address_space:  global
        .offset:         0
        .size:           8
        .value_kind:     global_buffer
      - .offset:         8
        .size:           8
        .value_kind:     by_value
      - .actual_access:  read_only
        .address_space:  global
        .offset:         16
        .size:           8
        .value_kind:     global_buffer
      - .actual_access:  read_only
        .address_space:  global
        .offset:         24
        .size:           8
        .value_kind:     global_buffer
      - .offset:         32
        .size:           8
        .value_kind:     by_value
      - .actual_access:  read_only
        .address_space:  global
        .offset:         40
        .size:           8
        .value_kind:     global_buffer
      - .actual_access:  read_only
        .address_space:  global
        .offset:         48
        .size:           8
        .value_kind:     global_buffer
      - .offset:         56
        .size:           4
        .value_kind:     by_value
      - .actual_access:  read_only
        .address_space:  global
        .offset:         64
        .size:           8
        .value_kind:     global_buffer
      - .actual_access:  read_only
        .address_space:  global
        .offset:         72
        .size:           8
        .value_kind:     global_buffer
      - .address_space:  global
        .offset:         80
        .size:           8
        .value_kind:     global_buffer
    .group_segment_fixed_size: 0
    .kernarg_segment_align: 8
    .kernarg_segment_size: 88
    .language:       OpenCL C
    .language_version:
      - 2
      - 0
    .max_flat_workgroup_size: 231
    .name:           fft_rtc_fwd_len1617_factors_3_7_7_11_wgs_231_tpt_231_dp_ip_CI_sbrr_dirReg
    .private_segment_fixed_size: 0
    .sgpr_count:     38
    .sgpr_spill_count: 0
    .symbol:         fft_rtc_fwd_len1617_factors_3_7_7_11_wgs_231_tpt_231_dp_ip_CI_sbrr_dirReg.kd
    .uniform_work_group_size: 1
    .uses_dynamic_stack: false
    .vgpr_count:     254
    .vgpr_spill_count: 0
    .wavefront_size: 32
    .workgroup_processor_mode: 1
amdhsa.target:   amdgcn-amd-amdhsa--gfx1030
amdhsa.version:
  - 1
  - 2
...

	.end_amdgpu_metadata
